;; amdgpu-corpus repo=ROCm/rocFFT kind=compiled arch=gfx950 opt=O3
	.text
	.amdgcn_target "amdgcn-amd-amdhsa--gfx950"
	.amdhsa_code_object_version 6
	.protected	fft_rtc_fwd_len968_factors_2_2_2_11_11_wgs_176_tpt_88_dp_op_CI_CI_unitstride_sbrr_C2R_dirReg ; -- Begin function fft_rtc_fwd_len968_factors_2_2_2_11_11_wgs_176_tpt_88_dp_op_CI_CI_unitstride_sbrr_C2R_dirReg
	.globl	fft_rtc_fwd_len968_factors_2_2_2_11_11_wgs_176_tpt_88_dp_op_CI_CI_unitstride_sbrr_C2R_dirReg
	.p2align	8
	.type	fft_rtc_fwd_len968_factors_2_2_2_11_11_wgs_176_tpt_88_dp_op_CI_CI_unitstride_sbrr_C2R_dirReg,@function
fft_rtc_fwd_len968_factors_2_2_2_11_11_wgs_176_tpt_88_dp_op_CI_CI_unitstride_sbrr_C2R_dirReg: ; @fft_rtc_fwd_len968_factors_2_2_2_11_11_wgs_176_tpt_88_dp_op_CI_CI_unitstride_sbrr_C2R_dirReg
; %bb.0:
	s_load_dwordx4 s[4:7], s[0:1], 0x58
	s_load_dwordx4 s[8:11], s[0:1], 0x0
	;; [unrolled: 1-line block ×3, first 2 shown]
	v_mul_u32_u24_e32 v1, 0x2e9, v0
	v_lshrrev_b32_e32 v1, 16, v1
	v_lshl_add_u32 v6, s2, 1, v1
	v_mov_b32_e32 v4, 0
	s_waitcnt lgkmcnt(0)
	v_cmp_lt_u64_e64 s[2:3], s[10:11], 2
	v_mov_b32_e32 v7, v4
	s_and_b64 vcc, exec, s[2:3]
	v_mov_b64_e32 v[2:3], 0
	s_cbranch_vccnz .LBB0_8
; %bb.1:
	s_load_dwordx2 s[2:3], s[0:1], 0x10
	s_add_u32 s16, s14, 8
	s_addc_u32 s17, s15, 0
	s_add_u32 s18, s12, 8
	s_addc_u32 s19, s13, 0
	s_waitcnt lgkmcnt(0)
	s_add_u32 s20, s2, 8
	v_mov_b64_e32 v[2:3], 0
	s_addc_u32 s21, s3, 0
	s_mov_b64 s[22:23], 1
	v_mov_b64_e32 v[52:53], v[2:3]
.LBB0_2:                                ; =>This Inner Loop Header: Depth=1
	s_load_dwordx2 s[24:25], s[20:21], 0x0
                                        ; implicit-def: $vgpr54_vgpr55
	s_waitcnt lgkmcnt(0)
	v_or_b32_e32 v5, s25, v7
	v_cmp_ne_u64_e32 vcc, 0, v[4:5]
	s_and_saveexec_b64 s[2:3], vcc
	s_xor_b64 s[26:27], exec, s[2:3]
	s_cbranch_execz .LBB0_4
; %bb.3:                                ;   in Loop: Header=BB0_2 Depth=1
	v_cvt_f32_u32_e32 v5, s24
	v_cvt_f32_u32_e32 v8, s25
	s_sub_u32 s2, 0, s24
	s_subb_u32 s3, 0, s25
	v_fmac_f32_e32 v5, 0x4f800000, v8
	v_rcp_f32_e32 v5, v5
	s_nop 0
	v_mul_f32_e32 v5, 0x5f7ffffc, v5
	v_mul_f32_e32 v8, 0x2f800000, v5
	v_trunc_f32_e32 v8, v8
	v_fmac_f32_e32 v5, 0xcf800000, v8
	v_cvt_u32_f32_e32 v12, v8
	v_cvt_u32_f32_e32 v5, v5
	v_mul_lo_u32 v8, s2, v12
	v_mul_hi_u32 v10, s2, v5
	v_mul_lo_u32 v9, s3, v5
	v_add_u32_e32 v10, v10, v8
	v_mul_lo_u32 v13, s2, v5
	v_add_u32_e32 v14, v10, v9
	v_mul_hi_u32 v8, v5, v13
	v_mul_hi_u32 v11, v5, v14
	v_mul_lo_u32 v10, v5, v14
	v_mov_b32_e32 v9, v4
	v_lshl_add_u64 v[8:9], v[8:9], 0, v[10:11]
	v_mul_hi_u32 v11, v12, v13
	v_mul_lo_u32 v13, v12, v13
	v_add_co_u32_e32 v8, vcc, v8, v13
	v_mul_hi_u32 v10, v12, v14
	s_nop 0
	v_addc_co_u32_e32 v8, vcc, v9, v11, vcc
	v_mov_b32_e32 v9, v4
	s_nop 0
	v_addc_co_u32_e32 v11, vcc, 0, v10, vcc
	v_mul_lo_u32 v10, v12, v14
	v_lshl_add_u64 v[8:9], v[8:9], 0, v[10:11]
	v_add_co_u32_e32 v5, vcc, v5, v8
	v_mul_lo_u32 v10, s2, v5
	s_nop 0
	v_addc_co_u32_e32 v12, vcc, v12, v9, vcc
	v_mul_lo_u32 v8, s2, v12
	v_mul_hi_u32 v9, s2, v5
	v_add_u32_e32 v8, v9, v8
	v_mul_lo_u32 v9, s3, v5
	v_add_u32_e32 v13, v8, v9
	v_mul_hi_u32 v15, v12, v10
	v_mul_lo_u32 v16, v12, v10
	v_mul_hi_u32 v9, v5, v13
	v_mul_lo_u32 v8, v5, v13
	v_mul_hi_u32 v10, v5, v10
	v_mov_b32_e32 v11, v4
	v_lshl_add_u64 v[8:9], v[10:11], 0, v[8:9]
	v_add_co_u32_e32 v8, vcc, v8, v16
	v_mul_hi_u32 v14, v12, v13
	s_nop 0
	v_addc_co_u32_e32 v8, vcc, v9, v15, vcc
	v_mul_lo_u32 v10, v12, v13
	s_nop 0
	v_addc_co_u32_e32 v11, vcc, 0, v14, vcc
	v_mov_b32_e32 v9, v4
	v_lshl_add_u64 v[8:9], v[8:9], 0, v[10:11]
	v_add_co_u32_e32 v5, vcc, v5, v8
	v_mul_hi_u32 v10, v6, v5
	s_nop 0
	v_addc_co_u32_e32 v12, vcc, v12, v9, vcc
	v_mad_u64_u32 v[8:9], s[2:3], v6, v12, 0
	v_mov_b32_e32 v11, v4
	v_lshl_add_u64 v[8:9], v[10:11], 0, v[8:9]
	v_mad_u64_u32 v[10:11], s[2:3], v7, v12, 0
	v_mad_u64_u32 v[12:13], s[2:3], v7, v5, 0
	v_add_co_u32_e32 v5, vcc, v8, v12
	s_nop 1
	v_addc_co_u32_e32 v8, vcc, v9, v13, vcc
	v_mov_b32_e32 v9, v4
	s_nop 0
	v_addc_co_u32_e32 v11, vcc, 0, v11, vcc
	v_lshl_add_u64 v[8:9], v[8:9], 0, v[10:11]
	v_mul_lo_u32 v5, s25, v8
	v_mul_lo_u32 v12, s24, v9
	v_mad_u64_u32 v[10:11], s[2:3], s24, v8, 0
	v_add3_u32 v5, v11, v12, v5
	v_sub_u32_e32 v11, v7, v5
	v_mov_b32_e32 v12, s25
	v_sub_co_u32_e32 v14, vcc, v6, v10
	s_nop 1
	v_subb_co_u32_e64 v10, s[2:3], v11, v12, vcc
	v_subrev_co_u32_e64 v11, s[2:3], s24, v14
	v_subb_co_u32_e32 v5, vcc, v7, v5, vcc
	s_nop 0
	v_subbrev_co_u32_e64 v10, s[2:3], 0, v10, s[2:3]
	v_cmp_le_u32_e64 s[2:3], s25, v10
	v_cmp_le_u32_e32 vcc, s25, v5
	s_nop 0
	v_cndmask_b32_e64 v12, 0, -1, s[2:3]
	v_cmp_le_u32_e64 s[2:3], s24, v11
	s_nop 1
	v_cndmask_b32_e64 v11, 0, -1, s[2:3]
	v_cmp_eq_u32_e64 s[2:3], s25, v10
	s_nop 1
	v_cndmask_b32_e64 v15, v12, v11, s[2:3]
	v_lshl_add_u64 v[10:11], v[8:9], 0, 2
	v_lshl_add_u64 v[12:13], v[8:9], 0, 1
	v_cmp_ne_u32_e64 s[2:3], 0, v15
	s_nop 1
	v_cndmask_b32_e64 v11, v13, v11, s[2:3]
	v_cndmask_b32_e64 v13, 0, -1, vcc
	v_cmp_le_u32_e32 vcc, s24, v14
	s_nop 1
	v_cndmask_b32_e64 v14, 0, -1, vcc
	v_cmp_eq_u32_e32 vcc, s25, v5
	s_nop 1
	v_cndmask_b32_e32 v5, v13, v14, vcc
	v_cmp_ne_u32_e32 vcc, 0, v5
	v_cndmask_b32_e64 v5, v12, v10, s[2:3]
	s_nop 0
	v_cndmask_b32_e32 v55, v9, v11, vcc
	v_cndmask_b32_e32 v54, v8, v5, vcc
.LBB0_4:                                ;   in Loop: Header=BB0_2 Depth=1
	s_andn2_saveexec_b64 s[2:3], s[26:27]
	s_cbranch_execz .LBB0_6
; %bb.5:                                ;   in Loop: Header=BB0_2 Depth=1
	v_cvt_f32_u32_e32 v5, s24
	s_sub_i32 s26, 0, s24
	v_mov_b32_e32 v55, v4
	v_rcp_iflag_f32_e32 v5, v5
	s_nop 0
	v_mul_f32_e32 v5, 0x4f7ffffe, v5
	v_cvt_u32_f32_e32 v5, v5
	v_mul_lo_u32 v8, s26, v5
	v_mul_hi_u32 v8, v5, v8
	v_add_u32_e32 v5, v5, v8
	v_mul_hi_u32 v5, v6, v5
	v_mul_lo_u32 v8, v5, s24
	v_sub_u32_e32 v8, v6, v8
	v_add_u32_e32 v9, 1, v5
	v_subrev_u32_e32 v10, s24, v8
	v_cmp_le_u32_e32 vcc, s24, v8
	s_nop 1
	v_cndmask_b32_e32 v8, v8, v10, vcc
	v_cndmask_b32_e32 v5, v5, v9, vcc
	v_add_u32_e32 v9, 1, v5
	v_cmp_le_u32_e32 vcc, s24, v8
	s_nop 1
	v_cndmask_b32_e32 v54, v5, v9, vcc
.LBB0_6:                                ;   in Loop: Header=BB0_2 Depth=1
	s_or_b64 exec, exec, s[2:3]
	v_mad_u64_u32 v[8:9], s[2:3], v54, s24, 0
	s_load_dwordx2 s[2:3], s[18:19], 0x0
	v_mul_lo_u32 v5, v55, s24
	v_mul_lo_u32 v10, v54, s25
	s_load_dwordx2 s[24:25], s[16:17], 0x0
	s_add_u32 s22, s22, 1
	v_add3_u32 v5, v9, v10, v5
	v_sub_co_u32_e32 v6, vcc, v6, v8
	s_addc_u32 s23, s23, 0
	s_nop 0
	v_subb_co_u32_e32 v5, vcc, v7, v5, vcc
	s_add_u32 s16, s16, 8
	s_waitcnt lgkmcnt(0)
	v_mul_lo_u32 v7, s2, v5
	v_mul_lo_u32 v8, s3, v6
	v_mad_u64_u32 v[2:3], s[2:3], s2, v6, v[2:3]
	s_addc_u32 s17, s17, 0
	v_add3_u32 v3, v8, v3, v7
	v_mul_lo_u32 v5, s24, v5
	v_mul_lo_u32 v7, s25, v6
	v_mad_u64_u32 v[52:53], s[2:3], s24, v6, v[52:53]
	s_add_u32 s18, s18, 8
	v_add3_u32 v53, v7, v53, v5
	s_addc_u32 s19, s19, 0
	v_mov_b64_e32 v[6:7], s[10:11]
	s_add_u32 s20, s20, 8
	v_cmp_ge_u64_e32 vcc, s[22:23], v[6:7]
	s_addc_u32 s21, s21, 0
	s_cbranch_vccnz .LBB0_9
; %bb.7:                                ;   in Loop: Header=BB0_2 Depth=1
	v_mov_b64_e32 v[6:7], v[54:55]
	s_branch .LBB0_2
.LBB0_8:
	v_mov_b64_e32 v[52:53], v[2:3]
	v_mov_b64_e32 v[54:55], v[6:7]
.LBB0_9:
	s_load_dwordx2 s[2:3], s[0:1], 0x28
	s_lshl_b64 s[16:17], s[10:11], 3
	s_add_u32 s14, s14, s16
	v_and_b32_e32 v1, 1, v1
	s_addc_u32 s15, s15, s17
	v_cmp_eq_u32_e32 vcc, 1, v1
	v_mov_b32_e32 v1, 0x3c9
	s_waitcnt lgkmcnt(0)
	v_cmp_gt_u64_e64 s[0:1], s[2:3], v[54:55]
	v_cmp_le_u64_e64 s[2:3], s[2:3], v[54:55]
                                        ; implicit-def: $vgpr56
	s_and_saveexec_b64 s[10:11], s[2:3]
	s_xor_b64 s[2:3], exec, s[10:11]
; %bb.10:
	s_mov_b32 s10, 0x2e8ba2f
	v_mul_hi_u32 v2, v0, s10
	v_mul_u32_u24_e32 v2, 0x58, v2
	v_sub_u32_e32 v56, v0, v2
                                        ; implicit-def: $vgpr0
                                        ; implicit-def: $vgpr2_vgpr3
; %bb.11:
	s_or_saveexec_b64 s[10:11], s[2:3]
	s_load_dwordx2 s[2:3], s[14:15], 0x0
	v_cndmask_b32_e32 v12, 0, v1, vcc
	v_lshlrev_b32_e32 v60, 4, v12
	s_xor_b64 exec, exec, s[10:11]
	s_cbranch_execz .LBB0_15
; %bb.12:
	s_add_u32 s12, s12, s16
	s_addc_u32 s13, s13, s17
	s_load_dwordx2 s[12:13], s[12:13], 0x0
	s_mov_b32 s14, 0x2e8ba2f
	s_waitcnt lgkmcnt(0)
	v_mul_lo_u32 v1, s13, v54
	v_mul_lo_u32 v6, s12, v55
	v_mad_u64_u32 v[4:5], s[12:13], s12, v54, 0
	v_add3_u32 v5, v5, v6, v1
	v_mul_hi_u32 v1, v0, s14
	v_mul_u32_u24_e32 v1, 0x58, v1
	v_sub_u32_e32 v56, v0, v1
	v_lshl_add_u64 v[0:1], v[4:5], 4, s[4:5]
	v_lshl_add_u64 v[0:1], v[2:3], 4, v[0:1]
	v_lshlrev_b32_e32 v2, 4, v56
	v_mov_b32_e32 v3, 0
	v_lshl_add_u64 v[38:39], v[0:1], 0, v[2:3]
	s_movk_i32 s4, 0x1000
	v_add_co_u32_e32 v30, vcc, s4, v38
	s_movk_i32 s4, 0x2000
	s_nop 0
	v_addc_co_u32_e32 v31, vcc, 0, v39, vcc
	v_add_co_u32_e32 v50, vcc, s4, v38
	global_load_dwordx4 v[4:7], v[38:39], off
	global_load_dwordx4 v[8:11], v[38:39], off offset:1408
	v_addc_co_u32_e32 v51, vcc, 0, v39, vcc
	v_add_co_u32_e32 v58, vcc, 0x3000, v38
	global_load_dwordx4 v[14:17], v[38:39], off offset:2816
	global_load_dwordx4 v[18:21], v[30:31], off offset:128
	;; [unrolled: 1-line block ×4, first 2 shown]
	s_nop 0
	global_load_dwordx4 v[30:33], v[50:51], off offset:256
	global_load_dwordx4 v[34:37], v[50:51], off offset:1664
	v_addc_co_u32_e32 v59, vcc, 0, v39, vcc
	global_load_dwordx4 v[38:41], v[50:51], off offset:3072
	global_load_dwordx4 v[42:45], v[58:59], off offset:384
	;; [unrolled: 1-line block ×3, first 2 shown]
	s_movk_i32 s4, 0x57
	v_add3_u32 v2, 0, v60, v2
	v_cmp_eq_u32_e32 vcc, s4, v56
	s_waitcnt vmcnt(10)
	ds_write_b128 v2, v[4:7]
	s_waitcnt vmcnt(9)
	ds_write_b128 v2, v[8:11] offset:1408
	s_waitcnt vmcnt(8)
	ds_write_b128 v2, v[14:17] offset:2816
	s_waitcnt vmcnt(7)
	ds_write_b128 v2, v[18:21] offset:4224
	s_waitcnt vmcnt(6)
	ds_write_b128 v2, v[22:25] offset:5632
	s_waitcnt vmcnt(5)
	ds_write_b128 v2, v[26:29] offset:7040
	s_waitcnt vmcnt(4)
	ds_write_b128 v2, v[30:33] offset:8448
	s_waitcnt vmcnt(3)
	ds_write_b128 v2, v[34:37] offset:9856
	s_waitcnt vmcnt(2)
	ds_write_b128 v2, v[38:41] offset:11264
	s_waitcnt vmcnt(1)
	ds_write_b128 v2, v[42:45] offset:12672
	s_waitcnt vmcnt(0)
	ds_write_b128 v2, v[46:49] offset:14080
	s_and_saveexec_b64 s[4:5], vcc
	s_cbranch_execz .LBB0_14
; %bb.13:
	v_add_co_u32_e32 v0, vcc, 0x3000, v0
	v_mov_b32_e32 v56, 0x57
	s_nop 0
	v_addc_co_u32_e32 v1, vcc, 0, v1, vcc
	global_load_dwordx4 v[4:7], v[0:1], off offset:3200
	s_waitcnt vmcnt(0)
	ds_write_b128 v2, v[4:7] offset:14096
.LBB0_14:
	s_or_b64 exec, exec, s[4:5]
.LBB0_15:
	s_or_b64 exec, exec, s[10:11]
	v_lshl_add_u32 v58, v12, 4, 0
	v_lshlrev_b32_e32 v13, 4, v56
	v_add_u32_e32 v59, v58, v13
	s_waitcnt lgkmcnt(0)
	s_barrier
	v_sub_u32_e32 v10, v58, v13
	ds_read_b64 v[6:7], v59
	ds_read_b64 v[8:9], v10 offset:15488
	s_add_u32 s4, s8, 0x3c60
	s_addc_u32 s5, s9, 0
	v_cmp_ne_u32_e32 vcc, 0, v56
                                        ; implicit-def: $vgpr4_vgpr5
	s_waitcnt lgkmcnt(0)
	v_add_f64 v[0:1], v[6:7], v[8:9]
	v_add_f64 v[2:3], v[6:7], -v[8:9]
	s_and_saveexec_b64 s[10:11], vcc
	s_xor_b64 s[10:11], exec, s[10:11]
	s_cbranch_execz .LBB0_17
; %bb.16:
	v_mov_b32_e32 v57, 0
	v_lshl_add_u64 v[0:1], v[56:57], 4, s[4:5]
	global_load_dwordx4 v[14:17], v[0:1], off
	ds_read_b64 v[0:1], v10 offset:15496
	ds_read_b64 v[2:3], v59 offset:8
	v_add_f64 v[4:5], v[6:7], v[8:9]
	v_add_f64 v[8:9], v[6:7], -v[8:9]
	s_waitcnt lgkmcnt(0)
	v_add_f64 v[18:19], v[0:1], v[2:3]
	v_add_f64 v[0:1], v[2:3], -v[0:1]
	s_waitcnt vmcnt(0)
	v_fma_f64 v[20:21], v[8:9], v[16:17], v[4:5]
	v_fma_f64 v[4:5], -v[8:9], v[16:17], v[4:5]
	v_fma_f64 v[6:7], v[18:19], v[16:17], -v[0:1]
	v_fma_f64 v[2:3], v[18:19], v[16:17], v[0:1]
	v_fmac_f64_e32 v[4:5], v[18:19], v[14:15]
	v_fmac_f64_e32 v[6:7], v[8:9], v[14:15]
	v_fma_f64 v[0:1], -v[18:19], v[14:15], v[20:21]
	v_fmac_f64_e32 v[2:3], v[8:9], v[14:15]
	ds_write_b128 v10, v[4:7] offset:15488
	v_mov_b64_e32 v[4:5], v[56:57]
.LBB0_17:
	s_andn2_saveexec_b64 s[10:11], s[10:11]
	s_cbranch_execz .LBB0_19
; %bb.18:
	ds_read_b128 v[4:7], v58 offset:7744
	s_waitcnt lgkmcnt(0)
	v_add_f64 v[4:5], v[4:5], v[4:5]
	v_mul_f64 v[6:7], v[6:7], -2.0
	ds_write_b128 v58, v[4:7] offset:7744
	v_mov_b64_e32 v[4:5], 0
.LBB0_19:
	s_or_b64 exec, exec, s[10:11]
	v_lshl_add_u64 v[4:5], v[4:5], 4, s[4:5]
	global_load_dwordx4 v[6:9], v[4:5], off offset:1408
	global_load_dwordx4 v[14:17], v[4:5], off offset:2816
	s_movk_i32 s4, 0x1000
	v_add_co_u32_e32 v4, vcc, s4, v4
	s_nop 1
	v_addc_co_u32_e32 v5, vcc, 0, v5, vcc
	global_load_dwordx4 v[18:21], v[4:5], off offset:128
	global_load_dwordx4 v[22:25], v[4:5], off offset:1536
	ds_write_b128 v59, v[0:3]
	ds_read_b128 v[0:3], v59 offset:1408
	ds_read_b128 v[26:29], v10 offset:14080
	v_cmp_gt_u32_e32 vcc, 44, v56
	s_waitcnt lgkmcnt(0)
	v_add_f64 v[30:31], v[0:1], v[26:27]
	v_add_f64 v[32:33], v[28:29], v[2:3]
	v_add_f64 v[34:35], v[0:1], -v[26:27]
	v_add_f64 v[0:1], v[2:3], -v[28:29]
	s_waitcnt vmcnt(3)
	v_fma_f64 v[36:37], v[34:35], v[8:9], v[30:31]
	v_fma_f64 v[2:3], v[32:33], v[8:9], v[0:1]
	v_fma_f64 v[26:27], -v[34:35], v[8:9], v[30:31]
	v_fma_f64 v[28:29], v[32:33], v[8:9], -v[0:1]
	v_fma_f64 v[0:1], -v[32:33], v[6:7], v[36:37]
	v_fmac_f64_e32 v[2:3], v[34:35], v[6:7]
	v_fmac_f64_e32 v[26:27], v[32:33], v[6:7]
	v_fmac_f64_e32 v[28:29], v[34:35], v[6:7]
	ds_write_b128 v59, v[0:3] offset:1408
	ds_write_b128 v10, v[26:29] offset:14080
	ds_read_b128 v[0:3], v59 offset:2816
	ds_read_b128 v[6:9], v10 offset:12672
	s_waitcnt lgkmcnt(0)
	v_add_f64 v[26:27], v[0:1], v[6:7]
	v_add_f64 v[28:29], v[8:9], v[2:3]
	v_add_f64 v[30:31], v[0:1], -v[6:7]
	v_add_f64 v[0:1], v[2:3], -v[8:9]
	s_waitcnt vmcnt(2)
	v_fma_f64 v[32:33], v[30:31], v[16:17], v[26:27]
	v_fma_f64 v[2:3], v[28:29], v[16:17], v[0:1]
	v_fma_f64 v[6:7], -v[30:31], v[16:17], v[26:27]
	v_fma_f64 v[8:9], v[28:29], v[16:17], -v[0:1]
	v_fma_f64 v[0:1], -v[28:29], v[14:15], v[32:33]
	v_fmac_f64_e32 v[2:3], v[30:31], v[14:15]
	v_fmac_f64_e32 v[6:7], v[28:29], v[14:15]
	v_fmac_f64_e32 v[8:9], v[30:31], v[14:15]
	ds_write_b128 v59, v[0:3] offset:2816
	ds_write_b128 v10, v[6:9] offset:12672
	ds_read_b128 v[0:3], v59 offset:4224
	ds_read_b128 v[6:9], v10 offset:11264
	;; [unrolled: 18-line block ×3, first 2 shown]
	s_waitcnt lgkmcnt(0)
	v_add_f64 v[14:15], v[0:1], v[6:7]
	v_add_f64 v[16:17], v[8:9], v[2:3]
	v_add_f64 v[18:19], v[0:1], -v[6:7]
	v_add_f64 v[0:1], v[2:3], -v[8:9]
	s_waitcnt vmcnt(0)
	v_fma_f64 v[20:21], v[18:19], v[24:25], v[14:15]
	v_fma_f64 v[2:3], v[16:17], v[24:25], v[0:1]
	v_fma_f64 v[6:7], -v[18:19], v[24:25], v[14:15]
	v_fma_f64 v[8:9], v[16:17], v[24:25], -v[0:1]
	v_fma_f64 v[0:1], -v[16:17], v[22:23], v[20:21]
	v_fmac_f64_e32 v[2:3], v[18:19], v[22:23]
	v_fmac_f64_e32 v[6:7], v[16:17], v[22:23]
	;; [unrolled: 1-line block ×3, first 2 shown]
	ds_write_b128 v59, v[0:3] offset:5632
	ds_write_b128 v10, v[6:9] offset:9856
	s_and_saveexec_b64 s[4:5], vcc
	s_cbranch_execz .LBB0_21
; %bb.20:
	global_load_dwordx4 v[0:3], v[4:5], off offset:2944
	ds_read_b128 v[4:7], v59 offset:7040
	ds_read_b128 v[14:17], v10 offset:8448
	s_waitcnt lgkmcnt(0)
	v_add_f64 v[8:9], v[4:5], v[14:15]
	v_add_f64 v[18:19], v[16:17], v[6:7]
	v_add_f64 v[14:15], v[4:5], -v[14:15]
	v_add_f64 v[16:17], v[6:7], -v[16:17]
	s_waitcnt vmcnt(0)
	v_fma_f64 v[20:21], v[14:15], v[2:3], v[8:9]
	v_fma_f64 v[4:5], v[18:19], v[2:3], v[16:17]
	v_fma_f64 v[6:7], -v[14:15], v[2:3], v[8:9]
	v_fma_f64 v[8:9], v[18:19], v[2:3], -v[16:17]
	v_fma_f64 v[2:3], -v[18:19], v[0:1], v[20:21]
	v_fmac_f64_e32 v[4:5], v[14:15], v[0:1]
	v_fmac_f64_e32 v[6:7], v[18:19], v[0:1]
	;; [unrolled: 1-line block ×3, first 2 shown]
	ds_write_b128 v59, v[2:5] offset:7040
	ds_write_b128 v10, v[6:9] offset:8448
.LBB0_21:
	s_or_b64 exec, exec, s[4:5]
	v_add_u32_e32 v46, 0, v13
	s_waitcnt lgkmcnt(0)
	s_barrier
	s_barrier
	v_add_u32_e32 v57, v46, v60
	ds_read_b128 v[0:3], v59
	ds_read_b128 v[4:7], v57 offset:1408
	ds_read_b128 v[8:11], v57 offset:7744
	;; [unrolled: 1-line block ×11, first 2 shown]
	s_waitcnt lgkmcnt(8)
	v_add_f64 v[70:71], v[4:5], -v[14:15]
	v_add_u32_e32 v14, v46, v13
	v_add_u32_e32 v49, 0x58, v56
	v_add_f64 v[8:9], v[0:1], -v[8:9]
	v_add_f64 v[10:11], v[2:3], -v[10:11]
	v_add_u32_e32 v15, v14, v60
	v_fma_f64 v[66:67], v[0:1], 2.0, -v[8:9]
	v_add_f64 v[72:73], v[6:7], -v[16:17]
	s_waitcnt lgkmcnt(0)
	s_barrier
	ds_write_b128 v15, v[8:11] offset:16
	v_lshlrev_b32_e32 v8, 5, v49
	v_fma_f64 v[68:69], v[2:3], 2.0, -v[10:11]
	v_fma_f64 v[74:75], v[4:5], 2.0, -v[70:71]
	;; [unrolled: 1-line block ×3, first 2 shown]
	v_add_u32_e32 v50, 0xb0, v56
	v_add3_u32 v8, 0, v8, v60
	v_add_f64 v[26:27], v[18:19], -v[26:27]
	v_add_f64 v[28:29], v[20:21], -v[28:29]
	ds_write_b128 v15, v[66:69]
	ds_write_b128 v8, v[74:77]
	ds_write_b128 v8, v[70:73] offset:16
	v_lshlrev_b32_e32 v8, 5, v50
	v_fma_f64 v[16:17], v[18:19], 2.0, -v[26:27]
	v_fma_f64 v[18:19], v[20:21], 2.0, -v[28:29]
	v_add_u32_e32 v51, 0x108, v56
	v_add3_u32 v8, 0, v8, v60
	v_add_f64 v[30:31], v[22:23], -v[30:31]
	v_add_f64 v[32:33], v[24:25], -v[32:33]
	ds_write_b128 v8, v[16:19]
	ds_write_b128 v8, v[26:29] offset:16
	v_lshlrev_b32_e32 v8, 5, v51
	v_fma_f64 v[20:21], v[22:23], 2.0, -v[30:31]
	v_fma_f64 v[22:23], v[24:25], 2.0, -v[32:33]
	v_add_f64 v[4:5], v[38:39], -v[62:63]
	v_add_u32_e32 v62, 0x160, v56
	v_add3_u32 v8, 0, v8, v60
	v_add_f64 v[42:43], v[34:35], -v[42:43]
	v_add_f64 v[44:45], v[36:37], -v[44:45]
	;; [unrolled: 1-line block ×3, first 2 shown]
	ds_write_b128 v8, v[20:23]
	ds_write_b128 v8, v[30:33] offset:16
	v_lshlrev_b32_e32 v8, 5, v62
	v_fma_f64 v[34:35], v[34:35], 2.0, -v[42:43]
	v_fma_f64 v[36:37], v[36:37], 2.0, -v[44:45]
	;; [unrolled: 1-line block ×4, first 2 shown]
	v_add_u32_e32 v48, 0x1b8, v56
	v_add3_u32 v8, 0, v8, v60
	ds_write_b128 v8, v[34:37]
	ds_write_b128 v8, v[42:45] offset:16
	s_and_saveexec_b64 s[4:5], vcc
	s_cbranch_execz .LBB0_23
; %bb.22:
	v_lshlrev_b32_e32 v8, 5, v48
	v_add3_u32 v8, 0, v8, v60
	ds_write_b128 v8, v[0:3]
	ds_write_b128 v8, v[4:7] offset:16
.LBB0_23:
	s_or_b64 exec, exec, s[4:5]
	v_sub_u32_e32 v13, v14, v13
	v_lshl_add_u32 v61, v12, 4, v13
	s_waitcnt lgkmcnt(0)
	s_barrier
	ds_read_b128 v[8:11], v59
	ds_read_b128 v[28:31], v57 offset:7744
	ds_read_b128 v[12:15], v61 offset:1408
	;; [unrolled: 1-line block ×9, first 2 shown]
	v_lshlrev_b32_e32 v64, 1, v49
	v_lshlrev_b32_e32 v65, 1, v50
	;; [unrolled: 1-line block ×4, first 2 shown]
	s_and_saveexec_b64 s[4:5], vcc
	s_cbranch_execz .LBB0_25
; %bb.24:
	ds_read_b128 v[0:3], v61 offset:7040
	ds_read_b128 v[4:7], v57 offset:14784
.LBB0_25:
	s_or_b64 exec, exec, s[4:5]
	v_and_b32_e32 v49, 1, v56
	v_lshlrev_b32_e32 v50, 4, v49
	global_load_dwordx4 v[68:71], v50, s[8:9]
	v_lshlrev_b32_e32 v66, 1, v56
	s_movk_i32 s4, 0xfc
	s_movk_i32 s5, 0x1fc
	;; [unrolled: 1-line block ×3, first 2 shown]
	v_and_or_b32 v50, v66, s4, v49
	v_and_or_b32 v51, v64, s5, v49
	;; [unrolled: 1-line block ×4, first 2 shown]
	v_lshlrev_b32_e32 v50, 4, v50
	v_lshlrev_b32_e32 v51, 4, v51
	;; [unrolled: 1-line block ×4, first 2 shown]
	v_and_or_b32 v67, v65, s10, v49
	v_add3_u32 v92, 0, v50, v60
	v_add3_u32 v93, 0, v51, v60
	;; [unrolled: 1-line block ×4, first 2 shown]
	v_lshlrev_b32_e32 v67, 4, v67
	v_add3_u32 v67, 0, v67, v60
	s_waitcnt lgkmcnt(0)
	s_barrier
	s_waitcnt vmcnt(0)
	v_mul_f64 v[50:51], v[30:31], v[70:71]
	v_mul_f64 v[72:73], v[28:29], v[70:71]
	;; [unrolled: 1-line block ×12, first 2 shown]
	v_fma_f64 v[28:29], v[28:29], v[68:69], -v[50:51]
	v_fmac_f64_e32 v[72:73], v[30:31], v[68:69]
	v_fma_f64 v[36:37], v[36:37], v[68:69], -v[74:75]
	v_fmac_f64_e32 v[76:77], v[38:39], v[68:69]
	;; [unrolled: 2-line block ×6, first 2 shown]
	v_add_f64 v[28:29], v[8:9], -v[28:29]
	v_add_f64 v[30:31], v[10:11], -v[72:73]
	;; [unrolled: 1-line block ×12, first 2 shown]
	v_fma_f64 v[8:9], v[8:9], 2.0, -v[28:29]
	v_fma_f64 v[10:11], v[10:11], 2.0, -v[30:31]
	;; [unrolled: 1-line block ×12, first 2 shown]
	ds_write_b128 v92, v[28:31] offset:32
	ds_write_b128 v92, v[8:11]
	ds_write_b128 v93, v[12:15]
	ds_write_b128 v93, v[32:35] offset:32
	ds_write_b128 v67, v[16:19]
	ds_write_b128 v67, v[36:39] offset:32
	;; [unrolled: 2-line block ×4, first 2 shown]
	v_lshlrev_b32_e32 v67, 1, v48
	s_and_saveexec_b64 s[4:5], vcc
	s_cbranch_execz .LBB0_27
; %bb.26:
	v_and_or_b32 v8, v67, s10, v49
	v_lshlrev_b32_e32 v8, 4, v8
	v_add3_u32 v8, 0, v8, v60
	ds_write_b128 v8, v[0:3]
	ds_write_b128 v8, v[4:7] offset:32
.LBB0_27:
	s_or_b64 exec, exec, s[4:5]
	s_waitcnt lgkmcnt(0)
	s_barrier
	ds_read_b128 v[8:11], v59
	ds_read_b128 v[28:31], v57 offset:7744
	ds_read_b128 v[12:15], v61 offset:1408
	;; [unrolled: 1-line block ×9, first 2 shown]
	s_and_saveexec_b64 s[4:5], vcc
	s_cbranch_execz .LBB0_29
; %bb.28:
	ds_read_b128 v[0:3], v57 offset:7040
	ds_read_b128 v[4:7], v57 offset:14784
.LBB0_29:
	s_or_b64 exec, exec, s[4:5]
	v_and_b32_e32 v68, 3, v56
	v_lshlrev_b32_e32 v48, 4, v68
	global_load_dwordx4 v[48:51], v48, s[8:9] offset:32
	s_movk_i32 s5, 0x1f8
	s_movk_i32 s10, 0x3f8
	v_and_or_b32 v64, v64, s5, v68
	v_and_or_b32 v65, v65, s10, v68
	;; [unrolled: 1-line block ×4, first 2 shown]
	s_movk_i32 s4, 0xf8
	v_lshlrev_b32_e32 v64, 4, v64
	v_lshlrev_b32_e32 v65, 4, v65
	v_lshlrev_b32_e32 v63, 4, v63
	v_lshlrev_b32_e32 v62, 4, v62
	v_and_or_b32 v66, v66, s4, v68
	v_add3_u32 v69, 0, v64, v60
	v_add3_u32 v86, 0, v65, v60
	;; [unrolled: 1-line block ×4, first 2 shown]
	v_lshlrev_b32_e32 v66, 4, v66
	v_add3_u32 v66, 0, v66, v60
	s_waitcnt lgkmcnt(0)
	s_barrier
	s_waitcnt vmcnt(0)
	v_mul_f64 v[62:63], v[30:31], v[50:51]
	v_mul_f64 v[64:65], v[28:29], v[50:51]
	;; [unrolled: 1-line block ×10, first 2 shown]
	v_fma_f64 v[28:29], v[28:29], v[48:49], -v[62:63]
	v_fmac_f64_e32 v[64:65], v[30:31], v[48:49]
	v_fma_f64 v[36:37], v[36:37], v[48:49], -v[70:71]
	v_fmac_f64_e32 v[72:73], v[38:39], v[48:49]
	v_fma_f64 v[38:39], v[32:33], v[48:49], -v[74:75]
	v_fmac_f64_e32 v[76:77], v[34:35], v[48:49]
	v_fma_f64 v[44:45], v[44:45], v[48:49], -v[78:79]
	v_fmac_f64_e32 v[80:81], v[46:47], v[48:49]
	v_fma_f64 v[46:47], v[40:41], v[48:49], -v[82:83]
	v_fmac_f64_e32 v[84:85], v[42:43], v[48:49]
	v_add_f64 v[28:29], v[8:9], -v[28:29]
	v_add_f64 v[30:31], v[10:11], -v[64:65]
	;; [unrolled: 1-line block ×10, first 2 shown]
	v_fma_f64 v[8:9], v[8:9], 2.0, -v[28:29]
	v_fma_f64 v[10:11], v[10:11], 2.0, -v[30:31]
	;; [unrolled: 1-line block ×10, first 2 shown]
	ds_write_b128 v66, v[28:31] offset:64
	ds_write_b128 v66, v[8:11]
	ds_write_b128 v69, v[12:15]
	ds_write_b128 v69, v[32:35] offset:64
	ds_write_b128 v86, v[16:19]
	ds_write_b128 v86, v[36:39] offset:64
	;; [unrolled: 2-line block ×4, first 2 shown]
	s_and_saveexec_b64 s[4:5], vcc
	s_cbranch_execz .LBB0_31
; %bb.30:
	v_mul_f64 v[8:9], v[4:5], v[50:51]
	v_fmac_f64_e32 v[8:9], v[6:7], v[48:49]
	v_mul_f64 v[6:7], v[6:7], v[50:51]
	v_fma_f64 v[4:5], v[4:5], v[48:49], -v[6:7]
	v_add_f64 v[6:7], v[0:1], -v[4:5]
	v_and_or_b32 v4, v67, s10, v68
	v_add_f64 v[8:9], v[2:3], -v[8:9]
	v_lshlrev_b32_e32 v4, 4, v4
	v_fma_f64 v[2:3], v[2:3], 2.0, -v[8:9]
	v_fma_f64 v[0:1], v[0:1], 2.0, -v[6:7]
	v_add3_u32 v4, 0, v4, v60
	ds_write_b128 v4, v[0:3]
	ds_write_b128 v4, v[6:9] offset:64
.LBB0_31:
	s_or_b64 exec, exec, s[4:5]
	v_and_b32_e32 v26, 7, v56
	v_mul_u32_u24_e32 v0, 10, v26
	v_lshlrev_b32_e32 v4, 4, v0
	s_waitcnt lgkmcnt(0)
	s_barrier
	global_load_dwordx4 v[0:3], v4, s[8:9] offset:96
	global_load_dwordx4 v[12:15], v4, s[8:9] offset:112
	;; [unrolled: 1-line block ×10, first 2 shown]
	ds_read_b128 v[66:69], v61 offset:2816
	ds_read_b128 v[70:73], v61 offset:4224
	;; [unrolled: 1-line block ×3, first 2 shown]
	ds_read_b128 v[4:7], v59
	ds_read_b128 v[78:81], v57 offset:7040
	ds_read_b128 v[82:85], v57 offset:8448
	;; [unrolled: 1-line block ×7, first 2 shown]
	s_mov_b32 s4, 0xf8bb580b
	s_mov_b32 s30, 0x8eee2c13
	;; [unrolled: 1-line block ×28, first 2 shown]
	s_waitcnt lgkmcnt(0)
	s_barrier
	s_waitcnt vmcnt(9)
	v_mul_f64 v[106:107], v[92:93], v[2:3]
	v_mul_f64 v[2:3], v[90:91], v[2:3]
	s_waitcnt vmcnt(8)
	v_mul_f64 v[108:109], v[68:69], v[14:15]
	v_mul_f64 v[110:111], v[66:67], v[14:15]
	;; [unrolled: 3-line block ×5, first 2 shown]
	s_waitcnt vmcnt(4)
	v_mul_f64 v[34:35], v[84:85], v[38:39]
	v_fma_f64 v[90:91], v[90:91], v[0:1], -v[106:107]
	v_fmac_f64_e32 v[2:3], v[92:93], v[0:1]
	s_waitcnt vmcnt(0)
	v_mul_f64 v[92:93], v[96:97], v[64:65]
	v_mul_f64 v[64:65], v[94:95], v[64:65]
	;; [unrolled: 1-line block ×6, first 2 shown]
	v_fma_f64 v[66:67], v[66:67], v[12:13], -v[108:109]
	v_fmac_f64_e32 v[110:111], v[68:69], v[12:13]
	v_fma_f64 v[68:69], v[70:71], v[20:21], -v[14:15]
	v_fma_f64 v[12:13], v[78:79], v[32:33], -v[30:31]
	v_fmac_f64_e32 v[8:9], v[80:81], v[32:33]
	v_fma_f64 v[14:15], v[82:83], v[36:37], -v[34:35]
	v_fmac_f64_e32 v[64:65], v[96:97], v[62:63]
	v_add_f64 v[32:33], v[4:5], v[90:91]
	v_add_f64 v[34:35], v[6:7], v[2:3]
	v_fmac_f64_e32 v[24:25], v[72:73], v[20:21]
	v_fma_f64 v[20:21], v[74:75], v[28:29], -v[22:23]
	v_fmac_f64_e32 v[16:17], v[76:77], v[28:29]
	v_fma_f64 v[22:23], v[86:87], v[40:41], -v[38:39]
	v_fma_f64 v[28:29], v[98:99], v[44:45], -v[42:43]
	v_add_f64 v[38:39], v[2:3], v[64:65]
	v_add_f64 v[42:43], v[2:3], -v[64:65]
	v_add_f64 v[2:3], v[32:33], v[66:67]
	v_add_f64 v[32:33], v[34:35], v[110:111]
	;; [unrolled: 1-line block ×6, first 2 shown]
	v_fmac_f64_e32 v[10:11], v[84:85], v[36:37]
	v_add_f64 v[2:3], v[2:3], v[12:13]
	v_add_f64 v[32:33], v[32:33], v[8:9]
	v_mul_f64 v[46:47], v[98:99], v[46:47]
	v_mul_f64 v[0:1], v[104:105], v[50:51]
	v_fmac_f64_e32 v[18:19], v[88:89], v[40:41]
	v_add_f64 v[2:3], v[2:3], v[14:15]
	v_add_f64 v[32:33], v[32:33], v[10:11]
	v_mul_f64 v[50:51], v[102:103], v[50:51]
	v_fmac_f64_e32 v[46:47], v[100:101], v[44:45]
	v_fma_f64 v[30:31], v[102:103], v[48:49], -v[0:1]
	v_fma_f64 v[0:1], v[94:95], v[62:63], -v[92:93]
	v_add_f64 v[2:3], v[2:3], v[22:23]
	v_add_f64 v[32:33], v[32:33], v[18:19]
	v_fmac_f64_e32 v[50:51], v[104:105], v[48:49]
	v_add_f64 v[40:41], v[90:91], -v[0:1]
	v_add_f64 v[2:3], v[2:3], v[28:29]
	v_add_f64 v[32:33], v[32:33], v[46:47]
	v_add_f64 v[36:37], v[90:91], v[0:1]
	v_mul_f64 v[34:35], v[42:43], s[4:5]
	v_add_f64 v[2:3], v[2:3], v[30:31]
	v_add_f64 v[32:33], v[32:33], v[50:51]
	v_mul_f64 v[44:45], v[40:41], s[4:5]
	v_mul_f64 v[62:63], v[42:43], s[30:31]
	;; [unrolled: 1-line block ×7, first 2 shown]
	v_add_f64 v[0:1], v[2:3], v[0:1]
	v_add_f64 v[2:3], v[32:33], v[64:65]
	v_fma_f64 v[32:33], v[36:37], s[16:17], -v[34:35]
	v_fma_f64 v[48:49], s[16:17], v[38:39], v[44:45]
	v_fmac_f64_e32 v[34:35], s[16:17], v[36:37]
	v_fma_f64 v[64:65], v[36:37], s[10:11], -v[62:63]
	v_fma_f64 v[72:73], s[10:11], v[38:39], v[70:71]
	v_fmac_f64_e32 v[62:63], s[10:11], v[36:37]
	;; [unrolled: 3-line block ×3, first 2 shown]
	v_fma_f64 v[84:85], v[36:37], s[18:19], -v[82:83]
	v_fmac_f64_e32 v[82:83], s[18:19], v[36:37]
	v_fma_f64 v[86:87], v[36:37], s[22:23], -v[42:43]
	v_fmac_f64_e32 v[42:43], s[22:23], v[36:37]
	v_mul_f64 v[36:37], v[40:41], s[20:21]
	v_mul_f64 v[40:41], v[40:41], s[24:25]
	v_fma_f64 v[44:45], v[38:39], s[16:17], -v[44:45]
	v_fma_f64 v[70:71], v[38:39], s[10:11], -v[70:71]
	;; [unrolled: 1-line block ×3, first 2 shown]
	v_fma_f64 v[88:89], s[18:19], v[38:39], v[36:37]
	v_fma_f64 v[36:37], v[38:39], s[18:19], -v[36:37]
	v_fma_f64 v[90:91], s[22:23], v[38:39], v[40:41]
	v_fma_f64 v[38:39], v[38:39], s[22:23], -v[40:41]
	v_add_f64 v[32:33], v[4:5], v[32:33]
	v_add_f64 v[40:41], v[6:7], v[48:49]
	;; [unrolled: 1-line block ×14, first 2 shown]
	v_add_f64 v[50:51], v[110:111], -v[50:51]
	v_add_f64 v[44:45], v[6:7], v[44:45]
	v_add_f64 v[70:71], v[6:7], v[70:71]
	;; [unrolled: 1-line block ×8, first 2 shown]
	v_add_f64 v[30:31], v[66:67], -v[30:31]
	v_mul_f64 v[66:67], v[50:51], s[30:31]
	v_fma_f64 v[90:91], v[38:39], s[10:11], -v[66:67]
	v_add_f64 v[32:33], v[90:91], v[32:33]
	v_mul_f64 v[90:91], v[30:31], s[30:31]
	v_fmac_f64_e32 v[66:67], s[10:11], v[38:39]
	v_add_f64 v[34:35], v[66:67], v[34:35]
	v_fma_f64 v[66:67], v[42:43], s[10:11], -v[90:91]
	v_add_f64 v[44:45], v[66:67], v[44:45]
	v_mul_f64 v[66:67], v[50:51], s[20:21]
	v_fma_f64 v[92:93], s[10:11], v[42:43], v[90:91]
	v_fma_f64 v[90:91], v[38:39], s[18:19], -v[66:67]
	v_add_f64 v[48:49], v[90:91], v[48:49]
	v_mul_f64 v[90:91], v[30:31], s[20:21]
	v_fmac_f64_e32 v[66:67], s[18:19], v[38:39]
	v_add_f64 v[62:63], v[66:67], v[62:63]
	v_fma_f64 v[66:67], v[42:43], s[18:19], -v[90:91]
	v_add_f64 v[66:67], v[66:67], v[70:71]
	v_mul_f64 v[70:71], v[50:51], s[36:37]
	v_add_f64 v[40:41], v[92:93], v[40:41]
	v_fma_f64 v[92:93], s[18:19], v[42:43], v[90:91]
	v_fma_f64 v[90:91], v[38:39], s[22:23], -v[70:71]
	v_add_f64 v[72:73], v[90:91], v[72:73]
	v_mul_f64 v[90:91], v[30:31], s[36:37]
	v_fmac_f64_e32 v[70:71], s[22:23], v[38:39]
	v_add_f64 v[70:71], v[70:71], v[74:75]
	v_fma_f64 v[74:75], v[42:43], s[22:23], -v[90:91]
	v_add_f64 v[74:75], v[74:75], v[78:79]
	v_mul_f64 v[78:79], v[50:51], s[34:35]
	v_add_f64 v[64:65], v[92:93], v[64:65]
	v_fma_f64 v[92:93], s[22:23], v[42:43], v[90:91]
	v_fma_f64 v[90:91], v[38:39], s[12:13], -v[78:79]
	v_add_f64 v[80:81], v[90:91], v[80:81]
	v_mul_f64 v[90:91], v[30:31], s[34:35]
	v_fmac_f64_e32 v[78:79], s[12:13], v[38:39]
	v_add_f64 v[78:79], v[78:79], v[82:83]
	v_fma_f64 v[82:83], v[42:43], s[12:13], -v[90:91]
	v_mul_f64 v[50:51], v[50:51], s[26:27]
	v_add_f64 v[36:37], v[82:83], v[36:37]
	v_fma_f64 v[82:83], v[38:39], s[16:17], -v[50:51]
	v_mul_f64 v[30:31], v[30:31], s[26:27]
	v_add_f64 v[82:83], v[82:83], v[86:87]
	v_fma_f64 v[86:87], s[16:17], v[42:43], v[30:31]
	v_fmac_f64_e32 v[50:51], s[16:17], v[38:39]
	v_fma_f64 v[30:31], v[42:43], s[16:17], -v[30:31]
	v_add_f64 v[38:39], v[24:25], v[46:47]
	v_add_f64 v[24:25], v[24:25], -v[46:47]
	v_add_f64 v[76:77], v[92:93], v[76:77]
	v_fma_f64 v[92:93], s[12:13], v[42:43], v[90:91]
	v_add_f64 v[6:7], v[30:31], v[6:7]
	v_add_f64 v[30:31], v[68:69], v[28:29]
	v_mul_f64 v[42:43], v[24:25], s[14:15]
	v_add_f64 v[28:29], v[68:69], -v[28:29]
	v_fma_f64 v[46:47], v[30:31], s[12:13], -v[42:43]
	v_add_f64 v[32:33], v[46:47], v[32:33]
	v_mul_f64 v[46:47], v[28:29], s[14:15]
	v_fmac_f64_e32 v[42:43], s[12:13], v[30:31]
	v_add_f64 v[34:35], v[42:43], v[34:35]
	v_fma_f64 v[42:43], v[38:39], s[12:13], -v[46:47]
	v_add_f64 v[42:43], v[42:43], v[44:45]
	v_mul_f64 v[44:45], v[24:25], s[36:37]
	v_add_f64 v[4:5], v[50:51], v[4:5]
	v_fma_f64 v[50:51], s[12:13], v[38:39], v[46:47]
	v_fma_f64 v[46:47], v[30:31], s[22:23], -v[44:45]
	v_add_f64 v[46:47], v[46:47], v[48:49]
	v_mul_f64 v[48:49], v[28:29], s[36:37]
	v_add_f64 v[40:41], v[50:51], v[40:41]
	v_fma_f64 v[50:51], s[22:23], v[38:39], v[48:49]
	v_fma_f64 v[48:49], v[38:39], s[22:23], -v[48:49]
	v_fmac_f64_e32 v[44:45], s[22:23], v[30:31]
	v_add_f64 v[48:49], v[48:49], v[66:67]
	v_mul_f64 v[66:67], v[28:29], s[28:29]
	v_add_f64 v[44:45], v[44:45], v[62:63]
	v_mul_f64 v[62:63], v[24:25], s[28:29]
	v_fma_f64 v[68:69], s[10:11], v[38:39], v[66:67]
	v_fma_f64 v[66:67], v[38:39], s[10:11], -v[66:67]
	v_add_f64 v[50:51], v[50:51], v[64:65]
	v_fma_f64 v[64:65], v[30:31], s[10:11], -v[62:63]
	v_fmac_f64_e32 v[62:63], s[10:11], v[30:31]
	v_add_f64 v[66:67], v[66:67], v[74:75]
	v_mul_f64 v[74:75], v[28:29], s[4:5]
	v_add_f64 v[68:69], v[68:69], v[76:77]
	v_add_f64 v[62:63], v[62:63], v[70:71]
	v_mul_f64 v[70:71], v[24:25], s[4:5]
	v_fma_f64 v[76:77], s[16:17], v[38:39], v[74:75]
	v_fma_f64 v[74:75], v[38:39], s[16:17], -v[74:75]
	v_mul_f64 v[24:25], v[24:25], s[20:21]
	v_add_f64 v[64:65], v[64:65], v[72:73]
	v_fma_f64 v[72:73], v[30:31], s[16:17], -v[70:71]
	v_fmac_f64_e32 v[70:71], s[16:17], v[30:31]
	v_add_f64 v[36:37], v[74:75], v[36:37]
	v_fma_f64 v[74:75], v[30:31], s[18:19], -v[24:25]
	v_mul_f64 v[28:29], v[28:29], s[20:21]
	v_fmac_f64_e32 v[24:25], s[18:19], v[30:31]
	v_add_f64 v[70:71], v[70:71], v[78:79]
	v_fma_f64 v[78:79], s[18:19], v[38:39], v[28:29]
	v_add_f64 v[4:5], v[24:25], v[4:5]
	v_fma_f64 v[24:25], v[38:39], s[18:19], -v[28:29]
	v_add_f64 v[28:29], v[16:17], v[18:19]
	v_add_f64 v[16:17], v[16:17], -v[18:19]
	v_add_f64 v[6:7], v[24:25], v[6:7]
	v_add_f64 v[24:25], v[20:21], v[22:23]
	v_add_f64 v[20:21], v[20:21], -v[22:23]
	v_mul_f64 v[18:19], v[16:17], s[20:21]
	v_fma_f64 v[22:23], v[24:25], s[18:19], -v[18:19]
	v_mul_f64 v[30:31], v[20:21], s[20:21]
	v_add_f64 v[22:23], v[22:23], v[32:33]
	v_fma_f64 v[32:33], s[18:19], v[28:29], v[30:31]
	v_add_f64 v[32:33], v[32:33], v[40:41]
	v_fmac_f64_e32 v[18:19], s[18:19], v[24:25]
	v_fma_f64 v[30:31], v[28:29], s[18:19], -v[30:31]
	v_mul_f64 v[40:41], v[20:21], s[34:35]
	v_add_f64 v[18:19], v[18:19], v[34:35]
	v_add_f64 v[30:31], v[30:31], v[42:43]
	v_mul_f64 v[34:35], v[16:17], s[34:35]
	v_fma_f64 v[42:43], s[12:13], v[28:29], v[40:41]
	v_fma_f64 v[40:41], v[28:29], s[12:13], -v[40:41]
	v_fma_f64 v[38:39], v[24:25], s[12:13], -v[34:35]
	v_fmac_f64_e32 v[34:35], s[12:13], v[24:25]
	v_add_f64 v[40:41], v[40:41], v[48:49]
	v_mul_f64 v[48:49], v[20:21], s[4:5]
	v_add_f64 v[42:43], v[42:43], v[50:51]
	v_add_f64 v[34:35], v[34:35], v[44:45]
	v_mul_f64 v[44:45], v[16:17], s[4:5]
	v_fma_f64 v[50:51], s[16:17], v[28:29], v[48:49]
	v_fma_f64 v[48:49], v[28:29], s[16:17], -v[48:49]
	v_add_f64 v[38:39], v[38:39], v[46:47]
	v_fma_f64 v[46:47], v[24:25], s[16:17], -v[44:45]
	v_fmac_f64_e32 v[44:45], s[16:17], v[24:25]
	v_add_f64 v[48:49], v[48:49], v[66:67]
	v_mul_f64 v[66:67], v[20:21], s[24:25]
	v_add_f64 v[50:51], v[50:51], v[68:69]
	v_add_f64 v[44:45], v[44:45], v[62:63]
	v_mul_f64 v[62:63], v[16:17], s[24:25]
	v_fma_f64 v[68:69], s[22:23], v[28:29], v[66:67]
	v_fma_f64 v[66:67], v[28:29], s[22:23], -v[66:67]
	v_mul_f64 v[16:17], v[16:17], s[28:29]
	v_add_f64 v[84:85], v[92:93], v[84:85]
	v_add_f64 v[86:87], v[86:87], v[88:89]
	;; [unrolled: 1-line block ×4, first 2 shown]
	v_fma_f64 v[64:65], v[24:25], s[22:23], -v[62:63]
	v_fmac_f64_e32 v[62:63], s[22:23], v[24:25]
	v_add_f64 v[66:67], v[66:67], v[36:37]
	v_fma_f64 v[36:37], v[24:25], s[10:11], -v[16:17]
	v_mul_f64 v[20:21], v[20:21], s[28:29]
	v_add_f64 v[72:73], v[72:73], v[80:81]
	v_add_f64 v[76:77], v[76:77], v[84:85]
	;; [unrolled: 1-line block ×5, first 2 shown]
	v_fma_f64 v[36:37], s[10:11], v[28:29], v[20:21]
	v_fmac_f64_e32 v[16:17], s[10:11], v[24:25]
	v_add_f64 v[82:83], v[8:9], -v[10:11]
	v_add_f64 v[64:65], v[64:65], v[72:73]
	v_add_f64 v[68:69], v[68:69], v[76:77]
	;; [unrolled: 1-line block ×4, first 2 shown]
	v_fma_f64 v[4:5], v[28:29], s[10:11], -v[20:21]
	v_add_f64 v[76:77], v[12:13], v[14:15]
	v_add_f64 v[78:79], v[8:9], v[10:11]
	v_mul_f64 v[8:9], v[82:83], s[24:25]
	v_add_f64 v[74:75], v[4:5], v[6:7]
	v_add_f64 v[80:81], v[12:13], -v[14:15]
	v_fma_f64 v[4:5], v[76:77], s[22:23], -v[8:9]
	v_fmac_f64_e32 v[8:9], s[22:23], v[76:77]
	v_mul_f64 v[28:29], v[82:83], s[20:21]
	v_add_f64 v[8:9], v[8:9], v[18:19]
	v_mul_f64 v[18:19], v[80:81], s[26:27]
	v_fma_f64 v[20:21], v[76:77], s[18:19], -v[28:29]
	v_fmac_f64_e32 v[28:29], s[18:19], v[76:77]
	v_fma_f64 v[14:15], s[16:17], v[78:79], v[18:19]
	v_fma_f64 v[18:19], v[78:79], s[16:17], -v[18:19]
	v_add_f64 v[28:29], v[28:29], v[44:45]
	v_mul_f64 v[44:45], v[82:83], s[14:15]
	v_add_f64 v[18:19], v[18:19], v[40:41]
	v_add_f64 v[20:21], v[20:21], v[46:47]
	v_fma_f64 v[40:41], v[76:77], s[12:13], -v[44:45]
	v_mul_f64 v[46:47], v[80:81], s[14:15]
	v_fmac_f64_e32 v[44:45], s[12:13], v[76:77]
	v_add_f64 v[44:45], v[44:45], v[24:25]
	v_fma_f64 v[24:25], v[78:79], s[12:13], -v[46:47]
	v_add_f64 v[14:15], v[14:15], v[42:43]
	v_fma_f64 v[42:43], s[12:13], v[78:79], v[46:47]
	v_add_f64 v[46:47], v[24:25], v[74:75]
	v_lshrrev_b32_e32 v24, 3, v56
	v_mul_f64 v[10:11], v[80:81], s[24:25]
	v_mul_f64 v[16:17], v[82:83], s[26:27]
	v_mul_u32_u24_e32 v24, 0x58, v24
	v_fma_f64 v[6:7], s[22:23], v[78:79], v[10:11]
	v_fma_f64 v[10:11], v[78:79], s[22:23], -v[10:11]
	v_fma_f64 v[12:13], v[76:77], s[16:17], -v[16:17]
	v_or_b32_e32 v24, v24, v26
	v_add_f64 v[10:11], v[10:11], v[30:31]
	v_add_f64 v[12:13], v[12:13], v[38:39]
	v_fmac_f64_e32 v[16:17], s[16:17], v[76:77]
	v_mul_f64 v[30:31], v[80:81], s[20:21]
	v_mul_f64 v[36:37], v[82:83], s[28:29]
	v_mul_f64 v[38:39], v[80:81], s[28:29]
	v_lshlrev_b32_e32 v24, 4, v24
	v_add_f64 v[4:5], v[4:5], v[22:23]
	v_add_f64 v[6:7], v[6:7], v[32:33]
	;; [unrolled: 1-line block ×3, first 2 shown]
	v_fma_f64 v[22:23], s[18:19], v[78:79], v[30:31]
	v_fma_f64 v[30:31], v[78:79], s[18:19], -v[30:31]
	v_fma_f64 v[32:33], v[76:77], s[10:11], -v[36:37]
	v_fma_f64 v[34:35], s[10:11], v[78:79], v[38:39]
	v_fmac_f64_e32 v[36:37], s[10:11], v[76:77]
	v_fma_f64 v[38:39], v[78:79], s[10:11], -v[38:39]
	v_add3_u32 v24, 0, v24, v60
	v_add_f64 v[22:23], v[22:23], v[50:51]
	v_add_f64 v[30:31], v[30:31], v[48:49]
	;; [unrolled: 1-line block ×8, first 2 shown]
	ds_write_b128 v24, v[0:3]
	ds_write_b128 v24, v[4:7] offset:128
	ds_write_b128 v24, v[12:15] offset:256
	;; [unrolled: 1-line block ×10, first 2 shown]
	v_mul_u32_u24_e32 v0, 10, v56
	v_lshlrev_b32_e32 v40, 4, v0
	s_waitcnt lgkmcnt(0)
	s_barrier
	global_load_dwordx4 v[0:3], v40, s[8:9] offset:1376
	global_load_dwordx4 v[4:7], v40, s[8:9] offset:1392
	;; [unrolled: 1-line block ×10, first 2 shown]
	ds_read_b128 v[40:43], v61 offset:1408
	ds_read_b128 v[44:47], v61 offset:2816
	;; [unrolled: 1-line block ×4, first 2 shown]
	ds_read_b128 v[64:67], v59
	ds_read_b128 v[68:71], v57 offset:7040
	ds_read_b128 v[72:75], v57 offset:8448
	;; [unrolled: 1-line block ×4, first 2 shown]
	s_waitcnt vmcnt(9) lgkmcnt(8)
	v_mul_f64 v[84:85], v[42:43], v[2:3]
	v_mul_f64 v[86:87], v[40:41], v[2:3]
	s_waitcnt vmcnt(8) lgkmcnt(7)
	v_mul_f64 v[88:89], v[46:47], v[6:7]
	v_fma_f64 v[84:85], v[40:41], v[0:1], -v[84:85]
	v_fmac_f64_e32 v[86:87], v[42:43], v[0:1]
	ds_read_b128 v[0:3], v57 offset:11264
	ds_read_b128 v[40:43], v57 offset:12672
	v_fma_f64 v[88:89], v[44:45], v[4:5], -v[88:89]
	v_mul_f64 v[44:45], v[44:45], v[6:7]
	v_fmac_f64_e32 v[44:45], v[46:47], v[4:5]
	s_waitcnt vmcnt(7) lgkmcnt(8)
	v_mul_f64 v[4:5], v[50:51], v[10:11]
	v_fma_f64 v[46:47], v[48:49], v[8:9], -v[4:5]
	v_mul_f64 v[48:49], v[48:49], v[10:11]
	v_fmac_f64_e32 v[48:49], v[50:51], v[8:9]
	s_waitcnt vmcnt(6) lgkmcnt(7)
	v_mul_f64 v[4:5], v[62:63], v[14:15]
	s_waitcnt vmcnt(4) lgkmcnt(4)
	v_mul_f64 v[8:9], v[74:75], v[22:23]
	v_mul_f64 v[10:11], v[72:73], v[22:23]
	v_fma_f64 v[50:51], v[60:61], v[12:13], -v[4:5]
	v_mul_f64 v[4:5], v[70:71], v[18:19]
	v_mul_f64 v[6:7], v[68:69], v[18:19]
	v_fma_f64 v[8:9], v[72:73], v[20:21], -v[8:9]
	v_fmac_f64_e32 v[10:11], v[74:75], v[20:21]
	s_waitcnt vmcnt(2) lgkmcnt(1)
	v_mul_f64 v[18:19], v[2:3], v[30:31]
	v_mul_f64 v[20:21], v[0:1], v[30:31]
	v_fma_f64 v[18:19], v[0:1], v[28:29], -v[18:19]
	v_fmac_f64_e32 v[20:21], v[2:3], v[28:29]
	s_waitcnt vmcnt(1) lgkmcnt(0)
	v_mul_f64 v[0:1], v[42:43], v[34:35]
	v_add_f64 v[2:3], v[66:67], v[86:87]
	v_mul_f64 v[14:15], v[60:61], v[14:15]
	v_fma_f64 v[22:23], v[40:41], v[32:33], -v[0:1]
	s_waitcnt vmcnt(0)
	v_mul_f64 v[0:1], v[82:83], v[38:39]
	v_add_f64 v[2:3], v[2:3], v[44:45]
	v_fmac_f64_e32 v[14:15], v[62:63], v[12:13]
	v_fma_f64 v[4:5], v[68:69], v[16:17], -v[4:5]
	v_fmac_f64_e32 v[6:7], v[70:71], v[16:17]
	v_mul_f64 v[12:13], v[78:79], v[26:27]
	v_mul_f64 v[16:17], v[76:77], v[26:27]
	v_fma_f64 v[26:27], v[80:81], v[36:37], -v[0:1]
	v_add_f64 v[0:1], v[64:65], v[84:85]
	v_add_f64 v[2:3], v[2:3], v[48:49]
	;; [unrolled: 1-line block ×6, first 2 shown]
	v_fmac_f64_e32 v[16:17], v[78:79], v[24:25]
	v_add_f64 v[0:1], v[0:1], v[50:51]
	v_add_f64 v[2:3], v[2:3], v[10:11]
	v_fma_f64 v[12:13], v[76:77], v[24:25], -v[12:13]
	v_mul_f64 v[24:25], v[40:41], v[34:35]
	v_add_f64 v[0:1], v[0:1], v[4:5]
	v_add_f64 v[2:3], v[2:3], v[16:17]
	v_fmac_f64_e32 v[24:25], v[42:43], v[32:33]
	v_mul_f64 v[28:29], v[80:81], v[38:39]
	v_add_f64 v[0:1], v[0:1], v[8:9]
	v_add_f64 v[2:3], v[2:3], v[20:21]
	v_fmac_f64_e32 v[28:29], v[82:83], v[36:37]
	v_add_f64 v[0:1], v[0:1], v[12:13]
	v_add_f64 v[2:3], v[2:3], v[24:25]
	;; [unrolled: 1-line block ×5, first 2 shown]
	v_add_f64 v[28:29], v[86:87], -v[28:29]
	v_add_f64 v[0:1], v[0:1], v[22:23]
	v_add_f64 v[30:31], v[84:85], v[26:27]
	v_mul_f64 v[34:35], v[28:29], s[4:5]
	v_mul_f64 v[42:43], v[28:29], s[30:31]
	;; [unrolled: 1-line block ×5, first 2 shown]
	v_add_f64 v[0:1], v[0:1], v[26:27]
	v_add_f64 v[26:27], v[84:85], -v[26:27]
	v_fma_f64 v[36:37], v[30:31], s[16:17], -v[34:35]
	v_fmac_f64_e32 v[34:35], s[16:17], v[30:31]
	v_fma_f64 v[60:61], v[30:31], s[10:11], -v[42:43]
	v_fmac_f64_e32 v[42:43], s[10:11], v[30:31]
	;; [unrolled: 2-line block ×5, first 2 shown]
	v_add_f64 v[36:37], v[64:65], v[36:37]
	v_mul_f64 v[38:39], v[26:27], s[4:5]
	v_add_f64 v[34:35], v[64:65], v[34:35]
	v_add_f64 v[60:61], v[64:65], v[60:61]
	v_mul_f64 v[62:63], v[26:27], s[30:31]
	v_add_f64 v[42:43], v[64:65], v[42:43]
	;; [unrolled: 3-line block ×5, first 2 shown]
	v_add_f64 v[64:65], v[44:45], v[24:25]
	v_add_f64 v[24:25], v[44:45], -v[24:25]
	v_fma_f64 v[40:41], s[16:17], v[32:33], v[38:39]
	v_fma_f64 v[38:39], v[32:33], s[16:17], -v[38:39]
	v_fma_f64 v[68:69], s[10:11], v[32:33], v[62:63]
	v_fma_f64 v[62:63], v[32:33], s[10:11], -v[62:63]
	;; [unrolled: 2-line block ×5, first 2 shown]
	v_add_f64 v[32:33], v[88:89], v[22:23]
	v_mul_f64 v[44:45], v[24:25], s[30:31]
	v_add_f64 v[40:41], v[66:67], v[40:41]
	v_add_f64 v[38:39], v[66:67], v[38:39]
	;; [unrolled: 1-line block ×10, first 2 shown]
	v_add_f64 v[22:23], v[88:89], -v[22:23]
	v_fma_f64 v[66:67], v[32:33], s[10:11], -v[44:45]
	v_add_f64 v[36:37], v[66:67], v[36:37]
	v_mul_f64 v[66:67], v[22:23], s[30:31]
	v_fmac_f64_e32 v[44:45], s[10:11], v[32:33]
	v_add_f64 v[34:35], v[44:45], v[34:35]
	v_fma_f64 v[44:45], v[64:65], s[10:11], -v[66:67]
	v_add_f64 v[38:39], v[44:45], v[38:39]
	v_mul_f64 v[44:45], v[24:25], s[20:21]
	v_fma_f64 v[88:89], s[10:11], v[64:65], v[66:67]
	v_fma_f64 v[66:67], v[32:33], s[18:19], -v[44:45]
	v_add_f64 v[60:61], v[66:67], v[60:61]
	v_mul_f64 v[66:67], v[22:23], s[20:21]
	v_fmac_f64_e32 v[44:45], s[18:19], v[32:33]
	v_add_f64 v[42:43], v[44:45], v[42:43]
	v_fma_f64 v[44:45], v[64:65], s[18:19], -v[66:67]
	v_add_f64 v[44:45], v[44:45], v[62:63]
	v_mul_f64 v[62:63], v[24:25], s[36:37]
	v_add_f64 v[40:41], v[88:89], v[40:41]
	v_fma_f64 v[88:89], s[18:19], v[64:65], v[66:67]
	v_fma_f64 v[66:67], v[32:33], s[22:23], -v[62:63]
	v_add_f64 v[66:67], v[66:67], v[72:73]
	v_mul_f64 v[72:73], v[22:23], s[36:37]
	v_fmac_f64_e32 v[62:63], s[22:23], v[32:33]
	v_add_f64 v[68:69], v[88:89], v[68:69]
	v_fma_f64 v[88:89], s[22:23], v[64:65], v[72:73]
	v_add_f64 v[62:63], v[62:63], v[70:71]
	v_fma_f64 v[70:71], v[64:65], s[22:23], -v[72:73]
	v_mul_f64 v[72:73], v[24:25], s[34:35]
	v_add_f64 v[70:71], v[70:71], v[74:75]
	v_fma_f64 v[74:75], v[32:33], s[12:13], -v[72:73]
	v_add_f64 v[74:75], v[74:75], v[80:81]
	v_mul_f64 v[80:81], v[22:23], s[34:35]
	v_fmac_f64_e32 v[72:73], s[12:13], v[32:33]
	v_mul_f64 v[24:25], v[24:25], s[26:27]
	v_add_f64 v[76:77], v[88:89], v[76:77]
	v_fma_f64 v[88:89], s[12:13], v[64:65], v[80:81]
	v_add_f64 v[72:73], v[72:73], v[78:79]
	v_fma_f64 v[78:79], v[64:65], s[12:13], -v[80:81]
	v_fma_f64 v[80:81], v[32:33], s[16:17], -v[24:25]
	v_mul_f64 v[22:23], v[22:23], s[26:27]
	v_fmac_f64_e32 v[24:25], s[16:17], v[32:33]
	v_add_f64 v[78:79], v[78:79], v[82:83]
	v_fma_f64 v[82:83], s[16:17], v[64:65], v[22:23]
	v_add_f64 v[24:25], v[24:25], v[28:29]
	v_fma_f64 v[22:23], v[64:65], s[16:17], -v[22:23]
	v_add_f64 v[28:29], v[48:49], v[20:21]
	v_add_f64 v[20:21], v[48:49], -v[20:21]
	v_add_f64 v[22:23], v[22:23], v[26:27]
	v_add_f64 v[26:27], v[46:47], v[18:19]
	v_mul_f64 v[32:33], v[20:21], s[14:15]
	v_add_f64 v[18:19], v[46:47], -v[18:19]
	v_fma_f64 v[46:47], v[26:27], s[12:13], -v[32:33]
	v_add_f64 v[36:37], v[46:47], v[36:37]
	v_mul_f64 v[46:47], v[18:19], s[14:15]
	v_fmac_f64_e32 v[32:33], s[12:13], v[26:27]
	v_add_f64 v[32:33], v[32:33], v[34:35]
	v_fma_f64 v[34:35], v[28:29], s[12:13], -v[46:47]
	v_fma_f64 v[48:49], s[12:13], v[28:29], v[46:47]
	v_add_f64 v[34:35], v[34:35], v[38:39]
	v_mul_f64 v[38:39], v[20:21], s[36:37]
	v_add_f64 v[40:41], v[48:49], v[40:41]
	v_fma_f64 v[46:47], v[26:27], s[22:23], -v[38:39]
	v_mul_f64 v[48:49], v[18:19], s[36:37]
	v_fmac_f64_e32 v[38:39], s[22:23], v[26:27]
	v_add_f64 v[38:39], v[38:39], v[42:43]
	v_fma_f64 v[42:43], v[28:29], s[22:23], -v[48:49]
	v_add_f64 v[42:43], v[42:43], v[44:45]
	v_mul_f64 v[44:45], v[20:21], s[28:29]
	v_add_f64 v[46:47], v[46:47], v[60:61]
	v_fma_f64 v[60:61], s[22:23], v[28:29], v[48:49]
	v_fma_f64 v[48:49], v[26:27], s[10:11], -v[44:45]
	v_mul_f64 v[64:65], v[18:19], s[28:29]
	v_fmac_f64_e32 v[44:45], s[10:11], v[26:27]
	v_add_f64 v[48:49], v[48:49], v[66:67]
	v_fma_f64 v[66:67], s[10:11], v[28:29], v[64:65]
	v_add_f64 v[44:45], v[44:45], v[62:63]
	v_fma_f64 v[62:63], v[28:29], s[10:11], -v[64:65]
	v_mul_f64 v[64:65], v[20:21], s[4:5]
	v_add_f64 v[60:61], v[60:61], v[68:69]
	v_fma_f64 v[68:69], v[26:27], s[16:17], -v[64:65]
	v_fmac_f64_e32 v[64:65], s[16:17], v[26:27]
	v_mul_f64 v[20:21], v[20:21], s[20:21]
	v_add_f64 v[62:63], v[62:63], v[70:71]
	v_mul_f64 v[70:71], v[18:19], s[4:5]
	v_add_f64 v[64:65], v[64:65], v[72:73]
	v_fma_f64 v[72:73], v[26:27], s[18:19], -v[20:21]
	v_mul_f64 v[18:19], v[18:19], s[20:21]
	v_fmac_f64_e32 v[20:21], s[18:19], v[26:27]
	v_add_f64 v[66:67], v[66:67], v[76:77]
	v_fma_f64 v[76:77], s[18:19], v[28:29], v[18:19]
	v_add_f64 v[20:21], v[20:21], v[24:25]
	v_fma_f64 v[18:19], v[28:29], s[18:19], -v[18:19]
	v_add_f64 v[24:25], v[14:15], v[16:17]
	v_add_f64 v[14:15], v[14:15], -v[16:17]
	v_add_f64 v[18:19], v[18:19], v[22:23]
	v_add_f64 v[22:23], v[50:51], v[12:13]
	v_add_f64 v[12:13], v[50:51], -v[12:13]
	v_mul_f64 v[16:17], v[14:15], s[20:21]
	v_add_f64 v[68:69], v[68:69], v[74:75]
	v_fma_f64 v[74:75], s[16:17], v[28:29], v[70:71]
	v_fma_f64 v[70:71], v[28:29], s[16:17], -v[70:71]
	v_fma_f64 v[26:27], v[22:23], s[18:19], -v[16:17]
	v_mul_f64 v[28:29], v[12:13], s[20:21]
	v_fmac_f64_e32 v[16:17], s[18:19], v[22:23]
	v_add_f64 v[26:27], v[26:27], v[36:37]
	v_fma_f64 v[36:37], s[18:19], v[24:25], v[28:29]
	v_add_f64 v[16:17], v[16:17], v[32:33]
	v_fma_f64 v[28:29], v[24:25], s[18:19], -v[28:29]
	v_mul_f64 v[32:33], v[14:15], s[34:35]
	v_add_f64 v[36:37], v[36:37], v[40:41]
	v_add_f64 v[28:29], v[28:29], v[34:35]
	v_fma_f64 v[34:35], v[22:23], s[12:13], -v[32:33]
	v_mul_f64 v[40:41], v[12:13], s[34:35]
	v_fmac_f64_e32 v[32:33], s[12:13], v[22:23]
	v_add_f64 v[34:35], v[34:35], v[46:47]
	v_fma_f64 v[46:47], s[12:13], v[24:25], v[40:41]
	v_add_f64 v[32:33], v[32:33], v[38:39]
	v_fma_f64 v[38:39], v[24:25], s[12:13], -v[40:41]
	v_mul_f64 v[40:41], v[14:15], s[4:5]
	v_add_f64 v[38:39], v[38:39], v[42:43]
	v_fma_f64 v[42:43], v[22:23], s[16:17], -v[40:41]
	v_add_f64 v[42:43], v[42:43], v[48:49]
	v_mul_f64 v[48:49], v[12:13], s[4:5]
	v_fmac_f64_e32 v[40:41], s[16:17], v[22:23]
	v_add_f64 v[40:41], v[40:41], v[44:45]
	v_fma_f64 v[44:45], v[24:25], s[16:17], -v[48:49]
	v_add_f64 v[84:85], v[88:89], v[84:85]
	v_add_f64 v[80:81], v[80:81], v[86:87]
	v_fma_f64 v[50:51], s[16:17], v[24:25], v[48:49]
	v_add_f64 v[44:45], v[44:45], v[62:63]
	v_mul_f64 v[62:63], v[12:13], s[24:25]
	v_add_f64 v[74:75], v[74:75], v[84:85]
	v_add_f64 v[72:73], v[72:73], v[80:81]
	;; [unrolled: 1-line block ×3, first 2 shown]
	v_fma_f64 v[66:67], s[22:23], v[24:25], v[62:63]
	v_add_f64 v[80:81], v[6:7], -v[10:11]
	v_add_f64 v[70:71], v[70:71], v[78:79]
	v_mul_f64 v[48:49], v[14:15], s[24:25]
	v_add_f64 v[66:67], v[66:67], v[74:75]
	v_add_f64 v[74:75], v[4:5], v[8:9]
	v_add_f64 v[78:79], v[4:5], -v[8:9]
	v_mul_f64 v[8:9], v[80:81], s[24:25]
	v_add_f64 v[46:47], v[46:47], v[60:61]
	v_fma_f64 v[60:61], v[22:23], s[22:23], -v[48:49]
	v_fmac_f64_e32 v[48:49], s[22:23], v[22:23]
	v_mul_f64 v[14:15], v[14:15], s[28:29]
	v_mul_f64 v[12:13], v[12:13], s[28:29]
	v_fma_f64 v[4:5], v[74:75], s[22:23], -v[8:9]
	v_fmac_f64_e32 v[8:9], s[22:23], v[74:75]
	v_add_f64 v[30:31], v[82:83], v[30:31]
	v_add_f64 v[60:61], v[60:61], v[68:69]
	;; [unrolled: 1-line block ×3, first 2 shown]
	v_fma_f64 v[62:63], v[24:25], s[22:23], -v[62:63]
	v_fma_f64 v[64:65], v[22:23], s[10:11], -v[14:15]
	v_fma_f64 v[68:69], s[10:11], v[24:25], v[12:13]
	v_fmac_f64_e32 v[14:15], s[10:11], v[22:23]
	v_fma_f64 v[12:13], v[24:25], s[10:11], -v[12:13]
	v_add_f64 v[8:9], v[8:9], v[16:17]
	v_mul_f64 v[16:17], v[80:81], s[26:27]
	v_mul_f64 v[24:25], v[80:81], s[20:21]
	v_add_f64 v[30:31], v[76:77], v[30:31]
	v_add_f64 v[62:63], v[62:63], v[70:71]
	;; [unrolled: 1-line block ×6, first 2 shown]
	v_mul_f64 v[10:11], v[78:79], s[24:25]
	v_fma_f64 v[12:13], v[74:75], s[16:17], -v[16:17]
	v_mul_f64 v[18:19], v[78:79], s[26:27]
	v_fmac_f64_e32 v[16:17], s[16:17], v[74:75]
	v_fma_f64 v[20:21], v[74:75], s[18:19], -v[24:25]
	v_fmac_f64_e32 v[24:25], s[18:19], v[74:75]
	v_add_f64 v[4:5], v[4:5], v[26:27]
	v_fma_f64 v[6:7], s[22:23], v[76:77], v[10:11]
	v_fma_f64 v[10:11], v[76:77], s[22:23], -v[10:11]
	v_add_f64 v[12:13], v[12:13], v[34:35]
	v_fma_f64 v[14:15], s[16:17], v[76:77], v[18:19]
	v_add_f64 v[16:17], v[16:17], v[32:33]
	v_fma_f64 v[18:19], v[76:77], s[16:17], -v[18:19]
	v_add_f64 v[20:21], v[20:21], v[42:43]
	v_mul_f64 v[26:27], v[78:79], s[20:21]
	v_add_f64 v[24:25], v[24:25], v[40:41]
	v_mul_f64 v[32:33], v[80:81], s[28:29]
	v_mul_f64 v[34:35], v[78:79], s[28:29]
	v_mul_f64 v[40:41], v[80:81], s[14:15]
	v_mul_f64 v[42:43], v[78:79], s[14:15]
	v_add_f64 v[68:69], v[68:69], v[30:31]
	v_add_f64 v[6:7], v[6:7], v[36:37]
	;; [unrolled: 1-line block ×4, first 2 shown]
	v_fma_f64 v[22:23], s[18:19], v[76:77], v[26:27]
	v_fma_f64 v[26:27], v[76:77], s[18:19], -v[26:27]
	v_fma_f64 v[28:29], v[74:75], s[10:11], -v[32:33]
	v_fma_f64 v[30:31], s[10:11], v[76:77], v[34:35]
	v_fmac_f64_e32 v[32:33], s[10:11], v[74:75]
	v_fma_f64 v[34:35], v[76:77], s[10:11], -v[34:35]
	v_fma_f64 v[36:37], v[74:75], s[12:13], -v[40:41]
	v_fma_f64 v[38:39], s[12:13], v[76:77], v[42:43]
	v_fmac_f64_e32 v[40:41], s[12:13], v[74:75]
	v_fma_f64 v[42:43], v[76:77], s[12:13], -v[42:43]
	v_add_f64 v[14:15], v[14:15], v[46:47]
	v_add_f64 v[22:23], v[22:23], v[50:51]
	;; [unrolled: 1-line block ×11, first 2 shown]
	s_barrier
	ds_write_b128 v57, v[0:3]
	ds_write_b128 v57, v[4:7] offset:1408
	ds_write_b128 v57, v[12:15] offset:2816
	;; [unrolled: 1-line block ×10, first 2 shown]
	s_waitcnt lgkmcnt(0)
	s_barrier
	s_and_saveexec_b64 s[4:5], s[0:1]
	s_cbranch_execz .LBB0_33
; %bb.32:
	v_mul_lo_u32 v0, s3, v54
	v_mul_lo_u32 v1, s2, v55
	v_mad_u64_u32 v[4:5], s[0:1], s2, v54, 0
	v_lshl_add_u32 v12, v56, 4, v58
	v_add3_u32 v5, v5, v1, v0
	ds_read_b128 v[0:3], v12
	v_lshl_add_u64 v[4:5], v[4:5], 4, s[6:7]
	v_lshl_add_u64 v[8:9], v[52:53], 4, v[4:5]
	ds_read_b128 v[4:7], v12 offset:1408
	v_mov_b32_e32 v57, 0
	v_lshl_add_u64 v[10:11], v[56:57], 4, v[8:9]
	s_waitcnt lgkmcnt(1)
	global_store_dwordx4 v[10:11], v[0:3], off
	s_nop 1
	v_add_u32_e32 v0, 0x58, v56
	v_mov_b32_e32 v1, v57
	v_lshl_add_u64 v[0:1], v[0:1], 4, v[8:9]
	s_waitcnt lgkmcnt(0)
	global_store_dwordx4 v[0:1], v[4:7], off
	ds_read_b128 v[0:3], v12 offset:2816
	s_nop 0
	v_add_u32_e32 v4, 0xb0, v56
	v_mov_b32_e32 v5, v57
	v_lshl_add_u64 v[10:11], v[4:5], 4, v[8:9]
	ds_read_b128 v[4:7], v12 offset:4224
	s_waitcnt lgkmcnt(1)
	global_store_dwordx4 v[10:11], v[0:3], off
	s_nop 1
	v_add_u32_e32 v0, 0x108, v56
	v_mov_b32_e32 v1, v57
	v_lshl_add_u64 v[0:1], v[0:1], 4, v[8:9]
	s_waitcnt lgkmcnt(0)
	global_store_dwordx4 v[0:1], v[4:7], off
	ds_read_b128 v[0:3], v12 offset:5632
	s_nop 0
	v_add_u32_e32 v4, 0x160, v56
	v_mov_b32_e32 v5, v57
	v_lshl_add_u64 v[10:11], v[4:5], 4, v[8:9]
	ds_read_b128 v[4:7], v12 offset:7040
	;; [unrolled: 14-line block ×4, first 2 shown]
	s_waitcnt lgkmcnt(1)
	global_store_dwordx4 v[10:11], v[0:3], off
	ds_read_b128 v[0:3], v12 offset:14080
	v_add_u32_e32 v10, 0x318, v56
	v_mov_b32_e32 v11, v57
	v_lshl_add_u64 v[10:11], v[10:11], 4, v[8:9]
	v_add_u32_e32 v56, 0x370, v56
	s_waitcnt lgkmcnt(1)
	global_store_dwordx4 v[10:11], v[4:7], off
	s_nop 1
	v_lshl_add_u64 v[4:5], v[56:57], 4, v[8:9]
	s_waitcnt lgkmcnt(0)
	global_store_dwordx4 v[4:5], v[0:3], off
.LBB0_33:
	s_endpgm
	.section	.rodata,"a",@progbits
	.p2align	6, 0x0
	.amdhsa_kernel fft_rtc_fwd_len968_factors_2_2_2_11_11_wgs_176_tpt_88_dp_op_CI_CI_unitstride_sbrr_C2R_dirReg
		.amdhsa_group_segment_fixed_size 0
		.amdhsa_private_segment_fixed_size 0
		.amdhsa_kernarg_size 104
		.amdhsa_user_sgpr_count 2
		.amdhsa_user_sgpr_dispatch_ptr 0
		.amdhsa_user_sgpr_queue_ptr 0
		.amdhsa_user_sgpr_kernarg_segment_ptr 1
		.amdhsa_user_sgpr_dispatch_id 0
		.amdhsa_user_sgpr_kernarg_preload_length 0
		.amdhsa_user_sgpr_kernarg_preload_offset 0
		.amdhsa_user_sgpr_private_segment_size 0
		.amdhsa_uses_dynamic_stack 0
		.amdhsa_enable_private_segment 0
		.amdhsa_system_sgpr_workgroup_id_x 1
		.amdhsa_system_sgpr_workgroup_id_y 0
		.amdhsa_system_sgpr_workgroup_id_z 0
		.amdhsa_system_sgpr_workgroup_info 0
		.amdhsa_system_vgpr_workitem_id 0
		.amdhsa_next_free_vgpr 112
		.amdhsa_next_free_sgpr 38
		.amdhsa_accum_offset 112
		.amdhsa_reserve_vcc 1
		.amdhsa_float_round_mode_32 0
		.amdhsa_float_round_mode_16_64 0
		.amdhsa_float_denorm_mode_32 3
		.amdhsa_float_denorm_mode_16_64 3
		.amdhsa_dx10_clamp 1
		.amdhsa_ieee_mode 1
		.amdhsa_fp16_overflow 0
		.amdhsa_tg_split 0
		.amdhsa_exception_fp_ieee_invalid_op 0
		.amdhsa_exception_fp_denorm_src 0
		.amdhsa_exception_fp_ieee_div_zero 0
		.amdhsa_exception_fp_ieee_overflow 0
		.amdhsa_exception_fp_ieee_underflow 0
		.amdhsa_exception_fp_ieee_inexact 0
		.amdhsa_exception_int_div_zero 0
	.end_amdhsa_kernel
	.text
.Lfunc_end0:
	.size	fft_rtc_fwd_len968_factors_2_2_2_11_11_wgs_176_tpt_88_dp_op_CI_CI_unitstride_sbrr_C2R_dirReg, .Lfunc_end0-fft_rtc_fwd_len968_factors_2_2_2_11_11_wgs_176_tpt_88_dp_op_CI_CI_unitstride_sbrr_C2R_dirReg
                                        ; -- End function
	.section	.AMDGPU.csdata,"",@progbits
; Kernel info:
; codeLenInByte = 11176
; NumSgprs: 44
; NumVgprs: 112
; NumAgprs: 0
; TotalNumVgprs: 112
; ScratchSize: 0
; MemoryBound: 0
; FloatMode: 240
; IeeeMode: 1
; LDSByteSize: 0 bytes/workgroup (compile time only)
; SGPRBlocks: 5
; VGPRBlocks: 13
; NumSGPRsForWavesPerEU: 44
; NumVGPRsForWavesPerEU: 112
; AccumOffset: 112
; Occupancy: 4
; WaveLimiterHint : 1
; COMPUTE_PGM_RSRC2:SCRATCH_EN: 0
; COMPUTE_PGM_RSRC2:USER_SGPR: 2
; COMPUTE_PGM_RSRC2:TRAP_HANDLER: 0
; COMPUTE_PGM_RSRC2:TGID_X_EN: 1
; COMPUTE_PGM_RSRC2:TGID_Y_EN: 0
; COMPUTE_PGM_RSRC2:TGID_Z_EN: 0
; COMPUTE_PGM_RSRC2:TIDIG_COMP_CNT: 0
; COMPUTE_PGM_RSRC3_GFX90A:ACCUM_OFFSET: 27
; COMPUTE_PGM_RSRC3_GFX90A:TG_SPLIT: 0
	.text
	.p2alignl 6, 3212836864
	.fill 256, 4, 3212836864
	.type	__hip_cuid_d387e0837a8f49f2,@object ; @__hip_cuid_d387e0837a8f49f2
	.section	.bss,"aw",@nobits
	.globl	__hip_cuid_d387e0837a8f49f2
__hip_cuid_d387e0837a8f49f2:
	.byte	0                               ; 0x0
	.size	__hip_cuid_d387e0837a8f49f2, 1

	.ident	"AMD clang version 19.0.0git (https://github.com/RadeonOpenCompute/llvm-project roc-6.4.0 25133 c7fe45cf4b819c5991fe208aaa96edf142730f1d)"
	.section	".note.GNU-stack","",@progbits
	.addrsig
	.addrsig_sym __hip_cuid_d387e0837a8f49f2
	.amdgpu_metadata
---
amdhsa.kernels:
  - .agpr_count:     0
    .args:
      - .actual_access:  read_only
        .address_space:  global
        .offset:         0
        .size:           8
        .value_kind:     global_buffer
      - .offset:         8
        .size:           8
        .value_kind:     by_value
      - .actual_access:  read_only
        .address_space:  global
        .offset:         16
        .size:           8
        .value_kind:     global_buffer
      - .actual_access:  read_only
        .address_space:  global
        .offset:         24
        .size:           8
        .value_kind:     global_buffer
      - .actual_access:  read_only
        .address_space:  global
        .offset:         32
        .size:           8
        .value_kind:     global_buffer
      - .offset:         40
        .size:           8
        .value_kind:     by_value
      - .actual_access:  read_only
        .address_space:  global
        .offset:         48
        .size:           8
        .value_kind:     global_buffer
      - .actual_access:  read_only
        .address_space:  global
        .offset:         56
        .size:           8
        .value_kind:     global_buffer
      - .offset:         64
        .size:           4
        .value_kind:     by_value
      - .actual_access:  read_only
        .address_space:  global
        .offset:         72
        .size:           8
        .value_kind:     global_buffer
      - .actual_access:  read_only
        .address_space:  global
        .offset:         80
        .size:           8
        .value_kind:     global_buffer
      - .actual_access:  read_only
        .address_space:  global
        .offset:         88
        .size:           8
        .value_kind:     global_buffer
      - .actual_access:  write_only
        .address_space:  global
        .offset:         96
        .size:           8
        .value_kind:     global_buffer
    .group_segment_fixed_size: 0
    .kernarg_segment_align: 8
    .kernarg_segment_size: 104
    .language:       OpenCL C
    .language_version:
      - 2
      - 0
    .max_flat_workgroup_size: 176
    .name:           fft_rtc_fwd_len968_factors_2_2_2_11_11_wgs_176_tpt_88_dp_op_CI_CI_unitstride_sbrr_C2R_dirReg
    .private_segment_fixed_size: 0
    .sgpr_count:     44
    .sgpr_spill_count: 0
    .symbol:         fft_rtc_fwd_len968_factors_2_2_2_11_11_wgs_176_tpt_88_dp_op_CI_CI_unitstride_sbrr_C2R_dirReg.kd
    .uniform_work_group_size: 1
    .uses_dynamic_stack: false
    .vgpr_count:     112
    .vgpr_spill_count: 0
    .wavefront_size: 64
amdhsa.target:   amdgcn-amd-amdhsa--gfx950
amdhsa.version:
  - 1
  - 2
...

	.end_amdgpu_metadata
